;; amdgpu-corpus repo=ROCm/rocFFT kind=compiled arch=gfx906 opt=O3
	.text
	.amdgcn_target "amdgcn-amd-amdhsa--gfx906"
	.amdhsa_code_object_version 6
	.protected	fft_rtc_fwd_len1296_factors_6_6_6_6_wgs_108_tpt_108_halfLds_sp_ip_CI_unitstride_sbrr_C2R_dirReg ; -- Begin function fft_rtc_fwd_len1296_factors_6_6_6_6_wgs_108_tpt_108_halfLds_sp_ip_CI_unitstride_sbrr_C2R_dirReg
	.globl	fft_rtc_fwd_len1296_factors_6_6_6_6_wgs_108_tpt_108_halfLds_sp_ip_CI_unitstride_sbrr_C2R_dirReg
	.p2align	8
	.type	fft_rtc_fwd_len1296_factors_6_6_6_6_wgs_108_tpt_108_halfLds_sp_ip_CI_unitstride_sbrr_C2R_dirReg,@function
fft_rtc_fwd_len1296_factors_6_6_6_6_wgs_108_tpt_108_halfLds_sp_ip_CI_unitstride_sbrr_C2R_dirReg: ; @fft_rtc_fwd_len1296_factors_6_6_6_6_wgs_108_tpt_108_halfLds_sp_ip_CI_unitstride_sbrr_C2R_dirReg
; %bb.0:
	s_load_dwordx2 s[2:3], s[4:5], 0x50
	s_load_dwordx4 s[8:11], s[4:5], 0x0
	s_load_dwordx2 s[12:13], s[4:5], 0x18
	v_mul_u32_u24_e32 v1, 0x25f, v0
	v_add_u32_sdwa v5, s6, v1 dst_sel:DWORD dst_unused:UNUSED_PAD src0_sel:DWORD src1_sel:WORD_1
	v_mov_b32_e32 v3, 0
	s_waitcnt lgkmcnt(0)
	v_cmp_lt_u64_e64 s[0:1], s[10:11], 2
	v_mov_b32_e32 v1, 0
	v_mov_b32_e32 v6, v3
	s_and_b64 vcc, exec, s[0:1]
	v_mov_b32_e32 v2, 0
	s_cbranch_vccnz .LBB0_8
; %bb.1:
	s_load_dwordx2 s[0:1], s[4:5], 0x10
	s_add_u32 s6, s12, 8
	s_addc_u32 s7, s13, 0
	v_mov_b32_e32 v1, 0
	v_mov_b32_e32 v2, 0
	s_waitcnt lgkmcnt(0)
	s_add_u32 s14, s0, 8
	s_addc_u32 s15, s1, 0
	s_mov_b64 s[16:17], 1
.LBB0_2:                                ; =>This Inner Loop Header: Depth=1
	s_load_dwordx2 s[18:19], s[14:15], 0x0
                                        ; implicit-def: $vgpr7_vgpr8
	s_waitcnt lgkmcnt(0)
	v_or_b32_e32 v4, s19, v6
	v_cmp_ne_u64_e32 vcc, 0, v[3:4]
	s_and_saveexec_b64 s[0:1], vcc
	s_xor_b64 s[20:21], exec, s[0:1]
	s_cbranch_execz .LBB0_4
; %bb.3:                                ;   in Loop: Header=BB0_2 Depth=1
	v_cvt_f32_u32_e32 v4, s18
	v_cvt_f32_u32_e32 v7, s19
	s_sub_u32 s0, 0, s18
	s_subb_u32 s1, 0, s19
	v_mac_f32_e32 v4, 0x4f800000, v7
	v_rcp_f32_e32 v4, v4
	v_mul_f32_e32 v4, 0x5f7ffffc, v4
	v_mul_f32_e32 v7, 0x2f800000, v4
	v_trunc_f32_e32 v7, v7
	v_mac_f32_e32 v4, 0xcf800000, v7
	v_cvt_u32_f32_e32 v7, v7
	v_cvt_u32_f32_e32 v4, v4
	v_mul_lo_u32 v8, s0, v7
	v_mul_hi_u32 v9, s0, v4
	v_mul_lo_u32 v11, s1, v4
	v_mul_lo_u32 v10, s0, v4
	v_add_u32_e32 v8, v9, v8
	v_add_u32_e32 v8, v8, v11
	v_mul_hi_u32 v9, v4, v10
	v_mul_lo_u32 v11, v4, v8
	v_mul_hi_u32 v13, v4, v8
	v_mul_hi_u32 v12, v7, v10
	v_mul_lo_u32 v10, v7, v10
	v_mul_hi_u32 v14, v7, v8
	v_add_co_u32_e32 v9, vcc, v9, v11
	v_addc_co_u32_e32 v11, vcc, 0, v13, vcc
	v_mul_lo_u32 v8, v7, v8
	v_add_co_u32_e32 v9, vcc, v9, v10
	v_addc_co_u32_e32 v9, vcc, v11, v12, vcc
	v_addc_co_u32_e32 v10, vcc, 0, v14, vcc
	v_add_co_u32_e32 v8, vcc, v9, v8
	v_addc_co_u32_e32 v9, vcc, 0, v10, vcc
	v_add_co_u32_e32 v4, vcc, v4, v8
	v_addc_co_u32_e32 v7, vcc, v7, v9, vcc
	v_mul_lo_u32 v8, s0, v7
	v_mul_hi_u32 v9, s0, v4
	v_mul_lo_u32 v10, s1, v4
	v_mul_lo_u32 v11, s0, v4
	v_add_u32_e32 v8, v9, v8
	v_add_u32_e32 v8, v8, v10
	v_mul_lo_u32 v12, v4, v8
	v_mul_hi_u32 v13, v4, v11
	v_mul_hi_u32 v14, v4, v8
	;; [unrolled: 1-line block ×3, first 2 shown]
	v_mul_lo_u32 v11, v7, v11
	v_mul_hi_u32 v9, v7, v8
	v_add_co_u32_e32 v12, vcc, v13, v12
	v_addc_co_u32_e32 v13, vcc, 0, v14, vcc
	v_mul_lo_u32 v8, v7, v8
	v_add_co_u32_e32 v11, vcc, v12, v11
	v_addc_co_u32_e32 v10, vcc, v13, v10, vcc
	v_addc_co_u32_e32 v9, vcc, 0, v9, vcc
	v_add_co_u32_e32 v8, vcc, v10, v8
	v_addc_co_u32_e32 v9, vcc, 0, v9, vcc
	v_add_co_u32_e32 v4, vcc, v4, v8
	v_addc_co_u32_e32 v9, vcc, v7, v9, vcc
	v_mad_u64_u32 v[7:8], s[0:1], v5, v9, 0
	v_mul_hi_u32 v10, v5, v4
	v_add_co_u32_e32 v11, vcc, v10, v7
	v_addc_co_u32_e32 v12, vcc, 0, v8, vcc
	v_mad_u64_u32 v[7:8], s[0:1], v6, v4, 0
	v_mad_u64_u32 v[9:10], s[0:1], v6, v9, 0
	v_add_co_u32_e32 v4, vcc, v11, v7
	v_addc_co_u32_e32 v4, vcc, v12, v8, vcc
	v_addc_co_u32_e32 v7, vcc, 0, v10, vcc
	v_add_co_u32_e32 v4, vcc, v4, v9
	v_addc_co_u32_e32 v9, vcc, 0, v7, vcc
	v_mul_lo_u32 v10, s19, v4
	v_mul_lo_u32 v11, s18, v9
	v_mad_u64_u32 v[7:8], s[0:1], s18, v4, 0
	v_add3_u32 v8, v8, v11, v10
	v_sub_u32_e32 v10, v6, v8
	v_mov_b32_e32 v11, s19
	v_sub_co_u32_e32 v7, vcc, v5, v7
	v_subb_co_u32_e64 v10, s[0:1], v10, v11, vcc
	v_subrev_co_u32_e64 v11, s[0:1], s18, v7
	v_subbrev_co_u32_e64 v10, s[0:1], 0, v10, s[0:1]
	v_cmp_le_u32_e64 s[0:1], s19, v10
	v_cndmask_b32_e64 v12, 0, -1, s[0:1]
	v_cmp_le_u32_e64 s[0:1], s18, v11
	v_cndmask_b32_e64 v11, 0, -1, s[0:1]
	v_cmp_eq_u32_e64 s[0:1], s19, v10
	v_cndmask_b32_e64 v10, v12, v11, s[0:1]
	v_add_co_u32_e64 v11, s[0:1], 2, v4
	v_addc_co_u32_e64 v12, s[0:1], 0, v9, s[0:1]
	v_add_co_u32_e64 v13, s[0:1], 1, v4
	v_addc_co_u32_e64 v14, s[0:1], 0, v9, s[0:1]
	v_subb_co_u32_e32 v8, vcc, v6, v8, vcc
	v_cmp_ne_u32_e64 s[0:1], 0, v10
	v_cmp_le_u32_e32 vcc, s19, v8
	v_cndmask_b32_e64 v10, v14, v12, s[0:1]
	v_cndmask_b32_e64 v12, 0, -1, vcc
	v_cmp_le_u32_e32 vcc, s18, v7
	v_cndmask_b32_e64 v7, 0, -1, vcc
	v_cmp_eq_u32_e32 vcc, s19, v8
	v_cndmask_b32_e32 v7, v12, v7, vcc
	v_cmp_ne_u32_e32 vcc, 0, v7
	v_cndmask_b32_e64 v7, v13, v11, s[0:1]
	v_cndmask_b32_e32 v8, v9, v10, vcc
	v_cndmask_b32_e32 v7, v4, v7, vcc
.LBB0_4:                                ;   in Loop: Header=BB0_2 Depth=1
	s_andn2_saveexec_b64 s[0:1], s[20:21]
	s_cbranch_execz .LBB0_6
; %bb.5:                                ;   in Loop: Header=BB0_2 Depth=1
	v_cvt_f32_u32_e32 v4, s18
	s_sub_i32 s20, 0, s18
	v_rcp_iflag_f32_e32 v4, v4
	v_mul_f32_e32 v4, 0x4f7ffffe, v4
	v_cvt_u32_f32_e32 v4, v4
	v_mul_lo_u32 v7, s20, v4
	v_mul_hi_u32 v7, v4, v7
	v_add_u32_e32 v4, v4, v7
	v_mul_hi_u32 v4, v5, v4
	v_mul_lo_u32 v7, v4, s18
	v_add_u32_e32 v8, 1, v4
	v_sub_u32_e32 v7, v5, v7
	v_subrev_u32_e32 v9, s18, v7
	v_cmp_le_u32_e32 vcc, s18, v7
	v_cndmask_b32_e32 v7, v7, v9, vcc
	v_cndmask_b32_e32 v4, v4, v8, vcc
	v_add_u32_e32 v8, 1, v4
	v_cmp_le_u32_e32 vcc, s18, v7
	v_cndmask_b32_e32 v7, v4, v8, vcc
	v_mov_b32_e32 v8, v3
.LBB0_6:                                ;   in Loop: Header=BB0_2 Depth=1
	s_or_b64 exec, exec, s[0:1]
	v_mul_lo_u32 v4, v8, s18
	v_mul_lo_u32 v11, v7, s19
	v_mad_u64_u32 v[9:10], s[0:1], v7, s18, 0
	s_load_dwordx2 s[0:1], s[6:7], 0x0
	s_add_u32 s16, s16, 1
	v_add3_u32 v4, v10, v11, v4
	v_sub_co_u32_e32 v5, vcc, v5, v9
	v_subb_co_u32_e32 v4, vcc, v6, v4, vcc
	s_waitcnt lgkmcnt(0)
	v_mul_lo_u32 v4, s0, v4
	v_mul_lo_u32 v6, s1, v5
	v_mad_u64_u32 v[1:2], s[0:1], s0, v5, v[1:2]
	s_addc_u32 s17, s17, 0
	s_add_u32 s6, s6, 8
	v_add3_u32 v2, v6, v2, v4
	v_mov_b32_e32 v4, s10
	v_mov_b32_e32 v5, s11
	s_addc_u32 s7, s7, 0
	v_cmp_ge_u64_e32 vcc, s[16:17], v[4:5]
	s_add_u32 s14, s14, 8
	s_addc_u32 s15, s15, 0
	s_cbranch_vccnz .LBB0_9
; %bb.7:                                ;   in Loop: Header=BB0_2 Depth=1
	v_mov_b32_e32 v5, v7
	v_mov_b32_e32 v6, v8
	s_branch .LBB0_2
.LBB0_8:
	v_mov_b32_e32 v8, v6
	v_mov_b32_e32 v7, v5
.LBB0_9:
	s_lshl_b64 s[0:1], s[10:11], 3
	s_add_u32 s0, s12, s0
	s_addc_u32 s1, s13, s1
	s_load_dwordx2 s[6:7], s[0:1], 0x0
	s_load_dwordx2 s[10:11], s[4:5], 0x20
	s_waitcnt lgkmcnt(0)
	v_mad_u64_u32 v[1:2], s[0:1], s6, v7, v[1:2]
	v_mul_lo_u32 v3, s6, v8
	v_mul_lo_u32 v4, s7, v7
	s_mov_b32 s0, 0x25ed098
	v_mul_hi_u32 v5, v0, s0
	v_cmp_gt_u64_e64 s[0:1], s[10:11], v[7:8]
	v_add3_u32 v2, v4, v2, v3
	v_lshlrev_b64 v[2:3], 3, v[1:2]
	v_mul_u32_u24_e32 v4, 0x6c, v5
	v_sub_u32_e32 v0, v0, v4
	s_and_saveexec_b64 s[4:5], s[0:1]
	s_cbranch_execz .LBB0_13
; %bb.10:
	v_mov_b32_e32 v1, 0
	v_mov_b32_e32 v4, s3
	v_add_co_u32_e32 v5, vcc, s2, v2
	v_lshlrev_b64 v[6:7], 3, v[0:1]
	v_addc_co_u32_e32 v4, vcc, v4, v3, vcc
	v_add_co_u32_e32 v6, vcc, v5, v6
	v_addc_co_u32_e32 v7, vcc, v4, v7, vcc
	s_movk_i32 s6, 0x1000
	v_add_co_u32_e32 v16, vcc, s6, v6
	v_addc_co_u32_e32 v17, vcc, 0, v7, vcc
	v_add_co_u32_e32 v18, vcc, 0x2000, v6
	global_load_dwordx2 v[8:9], v[6:7], off offset:2592
	global_load_dwordx2 v[10:11], v[6:7], off
	global_load_dwordx2 v[12:13], v[6:7], off offset:1728
	global_load_dwordx2 v[14:15], v[6:7], off offset:864
	v_addc_co_u32_e32 v19, vcc, 0, v7, vcc
	global_load_dwordx2 v[20:21], v[6:7], off offset:3456
	global_load_dwordx2 v[22:23], v[16:17], off offset:224
	;; [unrolled: 1-line block ×8, first 2 shown]
	v_lshl_add_u32 v6, v0, 3, 0
	s_movk_i32 s6, 0x6b
	v_add_u32_e32 v7, 0x400, v6
	v_cmp_eq_u32_e32 vcc, s6, v0
	v_add_u32_e32 v16, 0xc00, v6
	v_add_u32_e32 v17, 0x1000, v6
	v_add_u32_e32 v18, 0x1800, v6
	v_add_u32_e32 v19, 0x2000, v6
	s_waitcnt vmcnt(9)
	ds_write2_b64 v7, v[12:13], v[8:9] offset0:88 offset1:196
	s_waitcnt vmcnt(8)
	ds_write2_b64 v6, v[10:11], v[14:15] offset1:108
	s_waitcnt vmcnt(6)
	ds_write2_b64 v16, v[20:21], v[22:23] offset0:48 offset1:156
	s_waitcnt vmcnt(4)
	ds_write2_b64 v17, v[24:25], v[26:27] offset0:136 offset1:244
	;; [unrolled: 2-line block ×4, first 2 shown]
	s_and_saveexec_b64 s[6:7], vcc
	s_cbranch_execz .LBB0_12
; %bb.11:
	v_add_co_u32_e32 v5, vcc, 0x2000, v5
	v_addc_co_u32_e32 v6, vcc, 0, v4, vcc
	global_load_dwordx2 v[4:5], v[5:6], off offset:2176
	v_mov_b32_e32 v0, 0x6b
	s_waitcnt vmcnt(0)
	ds_write_b64 v1, v[4:5] offset:10368
.LBB0_12:
	s_or_b64 exec, exec, s[6:7]
.LBB0_13:
	s_or_b64 exec, exec, s[4:5]
	v_lshlrev_b32_e32 v1, 3, v0
	v_add_u32_e32 v8, 0, v1
	s_waitcnt lgkmcnt(0)
	s_barrier
	v_sub_u32_e32 v9, 0, v1
	ds_read_b32 v10, v8
	ds_read_b32 v11, v9 offset:10368
	s_add_u32 s6, s8, 0x2850
	s_addc_u32 s7, s9, 0
	v_cmp_ne_u32_e32 vcc, 0, v0
                                        ; implicit-def: $vgpr6_vgpr7
	s_waitcnt lgkmcnt(0)
	v_add_f32_e32 v4, v11, v10
	v_sub_f32_e32 v5, v10, v11
	s_and_saveexec_b64 s[4:5], vcc
	s_xor_b64 s[4:5], exec, s[4:5]
	s_cbranch_execz .LBB0_15
; %bb.14:
	v_mov_b32_e32 v1, 0
	v_lshlrev_b64 v[4:5], 3, v[0:1]
	v_mov_b32_e32 v6, s7
	v_add_co_u32_e32 v4, vcc, s6, v4
	v_addc_co_u32_e32 v5, vcc, v6, v5, vcc
	global_load_dwordx2 v[6:7], v[4:5], off
	ds_read_b32 v4, v9 offset:10372
	ds_read_b32 v5, v8 offset:4
	v_add_f32_e32 v12, v11, v10
	v_sub_f32_e32 v13, v10, v11
	s_waitcnt lgkmcnt(0)
	v_add_f32_e32 v14, v4, v5
	v_sub_f32_e32 v4, v5, v4
	s_waitcnt vmcnt(0)
	v_fma_f32 v15, v13, v7, v12
	v_fma_f32 v5, v14, v7, v4
	v_fma_f32 v10, -v13, v7, v12
	v_fma_f32 v11, v14, v7, -v4
	v_fma_f32 v4, -v6, v14, v15
	v_fmac_f32_e32 v5, v13, v6
	v_fmac_f32_e32 v10, v6, v14
	;; [unrolled: 1-line block ×3, first 2 shown]
	v_mov_b32_e32 v7, v1
	ds_write_b64 v9, v[10:11] offset:10368
	v_mov_b32_e32 v6, v0
.LBB0_15:
	s_andn2_saveexec_b64 s[4:5], s[4:5]
	s_cbranch_execz .LBB0_17
; %bb.16:
	v_mov_b32_e32 v1, 0
	ds_read_b64 v[6:7], v1 offset:5184
	s_waitcnt lgkmcnt(0)
	v_add_f32_e32 v10, v6, v6
	v_mul_f32_e32 v11, -2.0, v7
	v_mov_b32_e32 v6, 0
	v_mov_b32_e32 v7, 0
	ds_write_b64 v1, v[10:11] offset:5184
.LBB0_17:
	s_or_b64 exec, exec, s[4:5]
	v_lshlrev_b64 v[6:7], 3, v[6:7]
	v_mov_b32_e32 v1, s7
	v_add_co_u32_e32 v6, vcc, s6, v6
	v_addc_co_u32_e32 v7, vcc, v1, v7, vcc
	global_load_dwordx2 v[10:11], v[6:7], off offset:864
	global_load_dwordx2 v[12:13], v[6:7], off offset:1728
	;; [unrolled: 1-line block ×4, first 2 shown]
	s_movk_i32 s4, 0x1000
	v_add_co_u32_e32 v6, vcc, s4, v6
	ds_write_b64 v8, v[4:5]
	v_addc_co_u32_e32 v7, vcc, 0, v7, vcc
	ds_read_b64 v[4:5], v8 offset:864
	ds_read_b64 v[18:19], v9 offset:9504
	global_load_dwordx2 v[20:21], v[6:7], off offset:224
	v_mad_u32_u24 v45, v0, 40, v8
	s_movk_i32 s5, 0xab
	s_waitcnt lgkmcnt(0)
	v_add_f32_e32 v1, v4, v18
	v_add_f32_e32 v22, v19, v5
	v_sub_f32_e32 v18, v4, v18
	v_sub_f32_e32 v4, v5, v19
	s_waitcnt vmcnt(4)
	v_fma_f32 v19, v18, v11, v1
	v_fma_f32 v5, v22, v11, v4
	v_fma_f32 v6, -v18, v11, v1
	v_fma_f32 v7, v22, v11, -v4
	v_fma_f32 v4, -v10, v22, v19
	v_fmac_f32_e32 v5, v18, v10
	v_fmac_f32_e32 v6, v10, v22
	v_fmac_f32_e32 v7, v18, v10
	ds_write_b64 v8, v[4:5] offset:864
	ds_write_b64 v9, v[6:7] offset:9504
	ds_read_b64 v[4:5], v8 offset:1728
	ds_read_b64 v[6:7], v9 offset:8640
	s_waitcnt lgkmcnt(0)
	v_add_f32_e32 v1, v4, v6
	v_add_f32_e32 v10, v7, v5
	v_sub_f32_e32 v11, v4, v6
	v_sub_f32_e32 v4, v5, v7
	s_waitcnt vmcnt(3)
	v_fma_f32 v18, v11, v13, v1
	v_fma_f32 v5, v10, v13, v4
	v_fma_f32 v6, -v11, v13, v1
	v_fma_f32 v7, v10, v13, -v4
	v_fma_f32 v4, -v12, v10, v18
	v_fmac_f32_e32 v5, v11, v12
	v_fmac_f32_e32 v6, v12, v10
	v_fmac_f32_e32 v7, v11, v12
	ds_write_b64 v8, v[4:5] offset:1728
	ds_write_b64 v9, v[6:7] offset:8640
	ds_read_b64 v[4:5], v8 offset:2592
	ds_read_b64 v[6:7], v9 offset:7776
	;; [unrolled: 18-line block ×3, first 2 shown]
	v_add_u32_e32 v1, 0xc00, v8
	s_waitcnt lgkmcnt(0)
	v_add_f32_e32 v10, v4, v6
	v_add_f32_e32 v11, v7, v5
	v_sub_f32_e32 v12, v4, v6
	v_sub_f32_e32 v4, v5, v7
	s_waitcnt vmcnt(1)
	v_fma_f32 v13, v12, v17, v10
	v_fma_f32 v5, v11, v17, v4
	v_fma_f32 v6, -v12, v17, v10
	v_fma_f32 v7, v11, v17, -v4
	v_fma_f32 v4, -v16, v11, v13
	v_fmac_f32_e32 v5, v12, v16
	v_fmac_f32_e32 v6, v16, v11
	;; [unrolled: 1-line block ×3, first 2 shown]
	ds_write_b64 v8, v[4:5] offset:3456
	ds_write_b64 v9, v[6:7] offset:6912
	ds_read_b64 v[10:11], v8 offset:4320
	ds_read_b64 v[12:13], v9 offset:6048
	v_add_u32_e32 v4, 0x1800, v8
	v_add_u32_e32 v5, 0x400, v8
	;; [unrolled: 1-line block ×4, first 2 shown]
	s_waitcnt lgkmcnt(0)
	v_add_f32_e32 v14, v10, v12
	v_add_f32_e32 v15, v13, v11
	v_sub_f32_e32 v16, v10, v12
	v_sub_f32_e32 v10, v11, v13
	s_waitcnt vmcnt(0)
	v_fma_f32 v17, v16, v21, v14
	v_fma_f32 v11, v15, v21, v10
	v_fma_f32 v12, -v16, v21, v14
	v_fma_f32 v13, v15, v21, -v10
	v_fma_f32 v10, -v20, v15, v17
	v_fmac_f32_e32 v11, v16, v20
	v_fmac_f32_e32 v12, v20, v15
	;; [unrolled: 1-line block ×3, first 2 shown]
	ds_write_b64 v8, v[10:11] offset:4320
	ds_write_b64 v9, v[12:13] offset:6048
	s_waitcnt lgkmcnt(0)
	s_barrier
	s_barrier
	ds_read2_b64 v[9:12], v8 offset1:108
	ds_read2_b64 v[13:16], v1 offset0:48 offset1:156
	ds_read2_b64 v[17:20], v4 offset0:96 offset1:204
	;; [unrolled: 1-line block ×5, first 2 shown]
	s_waitcnt lgkmcnt(4)
	v_add_f32_e32 v33, v9, v13
	v_add_f32_e32 v36, v10, v14
	s_waitcnt lgkmcnt(3)
	v_add_f32_e32 v34, v13, v17
	v_sub_f32_e32 v35, v14, v18
	v_add_f32_e32 v14, v14, v18
	v_sub_f32_e32 v37, v13, v17
	v_add_f32_e32 v13, v11, v15
	v_add_f32_e32 v38, v15, v19
	v_sub_f32_e32 v41, v15, v19
	v_add_f32_e32 v15, v33, v17
	v_add_f32_e32 v17, v36, v18
	s_waitcnt lgkmcnt(0)
	v_add_f32_e32 v18, v25, v29
	v_add_f32_e32 v19, v13, v19
	v_add_f32_e32 v13, v21, v25
	v_sub_f32_e32 v33, v26, v30
	v_add_f32_e32 v36, v22, v26
	v_add_f32_e32 v26, v26, v30
	v_fma_f32 v18, -0.5, v18, v21
	v_sub_f32_e32 v25, v25, v29
	v_add_f32_e32 v29, v13, v29
	v_mov_b32_e32 v13, v18
	v_fma_f32 v21, -0.5, v26, v22
	v_add_f32_e32 v40, v12, v16
	v_fmac_f32_e32 v13, 0x3f5db3d7, v33
	v_mov_b32_e32 v22, v21
	v_sub_f32_e32 v39, v16, v20
	v_add_f32_e32 v16, v16, v20
	v_add_f32_e32 v20, v40, v20
	;; [unrolled: 1-line block ×4, first 2 shown]
	v_fmac_f32_e32 v22, 0xbf5db3d7, v25
	v_mul_f32_e32 v36, 0xbf5db3d7, v13
	v_add_f32_e32 v42, v27, v31
	v_add_f32_e32 v44, v24, v28
	v_sub_f32_e32 v27, v27, v31
	v_add_f32_e32 v31, v40, v31
	v_mul_f32_e32 v26, 0x3f5db3d7, v22
	v_fmac_f32_e32 v36, 0.5, v22
	v_fma_f32 v22, -0.5, v34, v9
	v_fma_f32 v40, -0.5, v14, v10
	v_sub_f32_e32 v43, v28, v32
	v_add_f32_e32 v28, v28, v32
	v_add_f32_e32 v32, v44, v32
	v_mov_b32_e32 v34, v22
	v_mov_b32_e32 v44, v40
	v_fmac_f32_e32 v26, 0.5, v13
	v_fmac_f32_e32 v34, 0x3f5db3d7, v35
	v_fmac_f32_e32 v44, 0xbf5db3d7, v37
	v_add_f32_e32 v9, v15, v29
	v_add_f32_e32 v10, v17, v30
	;; [unrolled: 1-line block ×4, first 2 shown]
	v_fmac_f32_e32 v18, 0xbf5db3d7, v33
	v_fmac_f32_e32 v21, 0x3f5db3d7, v25
	s_barrier
	ds_write2_b64 v45, v[9:10], v[13:14] offset1:1
	v_sub_f32_e32 v9, v15, v29
	v_sub_f32_e32 v10, v17, v30
	v_mul_f32_e32 v15, -0.5, v18
	v_mul_f32_e32 v17, -0.5, v21
	v_fmac_f32_e32 v22, 0xbf5db3d7, v35
	v_fmac_f32_e32 v40, 0x3f5db3d7, v37
	;; [unrolled: 1-line block ×4, first 2 shown]
	v_add_f32_e32 v13, v22, v15
	v_add_f32_e32 v14, v40, v17
	ds_write2_b64 v45, v[13:14], v[9:10] offset0:2 offset1:3
	v_fmac_f32_e32 v24, -0.5, v28
	v_fma_f32 v9, -0.5, v42, v23
	v_mov_b32_e32 v23, v9
	v_fmac_f32_e32 v9, 0xbf5db3d7, v43
	v_mov_b32_e32 v25, v24
	v_fmac_f32_e32 v24, 0x3f5db3d7, v27
	v_mul_f32_e32 v18, -0.5, v9
	v_mul_f32_e32 v13, -0.5, v24
	v_fmac_f32_e32 v12, -0.5, v16
	v_fmac_f32_e32 v18, 0x3f5db3d7, v24
	v_fmac_f32_e32 v13, 0xbf5db3d7, v9
	v_fma_f32 v11, -0.5, v38, v11
	v_mov_b32_e32 v24, v12
	v_fmac_f32_e32 v12, 0x3f5db3d7, v41
	v_fmac_f32_e32 v23, 0x3f5db3d7, v43
	;; [unrolled: 1-line block ×3, first 2 shown]
	v_add_f32_e32 v10, v12, v13
	v_sub_f32_e32 v12, v12, v13
	v_sub_f32_e32 v13, v34, v26
	v_mov_b32_e32 v26, v11
	v_mul_f32_e32 v27, 0x3f5db3d7, v25
	v_mul_f32_e32 v28, 0xbf5db3d7, v23
	v_sub_f32_e32 v14, v44, v36
	v_sub_f32_e32 v15, v22, v15
	;; [unrolled: 1-line block ×3, first 2 shown]
	v_fmac_f32_e32 v26, 0x3f5db3d7, v39
	v_fmac_f32_e32 v11, 0xbf5db3d7, v39
	;; [unrolled: 1-line block ×3, first 2 shown]
	v_fmac_f32_e32 v27, 0.5, v23
	v_fmac_f32_e32 v28, 0.5, v25
	v_add_f32_e32 v9, v11, v18
	v_sub_f32_e32 v11, v11, v18
	v_add_f32_e32 v17, v19, v31
	v_add_f32_e32 v18, v20, v32
	v_add_f32_e32 v21, v26, v27
	v_add_f32_e32 v22, v24, v28
	ds_write2_b64 v45, v[13:14], v[15:16] offset0:4 offset1:5
	v_add_u32_e32 v13, 0x1440, v45
	v_sub_f32_e32 v19, v19, v31
	v_sub_f32_e32 v20, v20, v32
	ds_write2_b64 v13, v[17:18], v[21:22] offset1:1
	v_add_u32_e32 v13, 0x1450, v45
	v_sub_f32_e32 v23, v26, v27
	v_sub_f32_e32 v24, v24, v28
	ds_write2_b64 v13, v[9:10], v[19:20] offset1:1
	v_add_u32_e32 v9, 0x1460, v45
	ds_write2_b64 v9, v[23:24], v[11:12] offset1:1
	v_mul_lo_u16_sdwa v9, v0, s5 dst_sel:DWORD dst_unused:UNUSED_PAD src0_sel:BYTE_0 src1_sel:DWORD
	v_lshrrev_b16_e32 v29, 10, v9
	v_mul_lo_u16_e32 v9, 6, v29
	v_add_u16_e32 v33, 0x6c, v0
	v_sub_u16_e32 v30, v0, v9
	v_mov_b32_e32 v31, 5
	v_mul_lo_u16_sdwa v13, v33, s5 dst_sel:DWORD dst_unused:UNUSED_PAD src0_sel:BYTE_0 src1_sel:DWORD
	v_mul_u32_u24_sdwa v9, v30, v31 dst_sel:DWORD dst_unused:UNUSED_PAD src0_sel:BYTE_0 src1_sel:DWORD
	v_lshrrev_b16_e32 v34, 10, v13
	v_lshlrev_b32_e32 v32, 3, v9
	v_mul_lo_u16_e32 v13, 6, v34
	s_waitcnt lgkmcnt(0)
	s_barrier
	global_load_dwordx4 v[9:12], v32, s[8:9]
	v_sub_u16_e32 v35, v33, v13
	v_mul_u32_u24_sdwa v13, v35, v31 dst_sel:DWORD dst_unused:UNUSED_PAD src0_sel:BYTE_0 src1_sel:DWORD
	v_lshlrev_b32_e32 v36, 3, v13
	global_load_dwordx4 v[13:16], v36, s[8:9]
	global_load_dwordx4 v[17:20], v32, s[8:9] offset:16
	ds_read2_b64 v[21:24], v5 offset0:88 offset1:196
	ds_read2_b64 v[25:28], v1 offset0:48 offset1:156
	s_waitcnt vmcnt(2) lgkmcnt(1)
	v_mul_f32_e32 v37, v10, v22
	v_mul_f32_e32 v38, v10, v21
	v_fma_f32 v37, v9, v21, -v37
	v_fmac_f32_e32 v38, v9, v22
	s_waitcnt lgkmcnt(0)
	v_mul_f32_e32 v9, v12, v26
	v_fma_f32 v39, v11, v25, -v9
	v_mul_f32_e32 v25, v12, v25
	global_load_dwordx2 v[21:22], v32, s[8:9] offset:32
	s_waitcnt vmcnt(2)
	v_mul_f32_e32 v9, v24, v14
	v_mul_f32_e32 v32, v23, v14
	v_fmac_f32_e32 v25, v11, v26
	v_fma_f32 v26, v23, v13, -v9
	v_fmac_f32_e32 v32, v24, v13
	v_mul_f32_e32 v13, v28, v16
	ds_read2_b64 v[9:12], v7 offset0:136 offset1:244
	v_fma_f32 v40, v27, v15, -v13
	v_mul_f32_e32 v27, v27, v16
	v_fmac_f32_e32 v27, v28, v15
	ds_read2_b64 v[13:16], v4 offset0:96 offset1:204
	s_waitcnt vmcnt(1) lgkmcnt(1)
	v_mul_f32_e32 v23, v18, v10
	v_fma_f32 v28, v17, v9, -v23
	v_mul_f32_e32 v41, v18, v9
	v_fmac_f32_e32 v41, v17, v10
	s_waitcnt lgkmcnt(0)
	v_mul_f32_e32 v9, v20, v14
	v_mul_f32_e32 v43, v20, v13
	v_fma_f32 v42, v19, v13, -v9
	v_fmac_f32_e32 v43, v19, v14
	global_load_dwordx4 v[17:20], v36, s[8:9] offset:16
	global_load_dwordx2 v[23:24], v36, s[8:9] offset:32
	s_waitcnt vmcnt(1)
	v_mul_f32_e32 v9, v12, v18
	v_fma_f32 v36, v11, v17, -v9
	v_mul_f32_e32 v18, v11, v18
	v_mul_f32_e32 v9, v16, v20
	v_fmac_f32_e32 v18, v12, v17
	v_fma_f32 v17, v15, v19, -v9
	ds_read2_b64 v[9:12], v6 offset0:56 offset1:164
	v_mul_f32_e32 v20, v15, v20
	v_fmac_f32_e32 v20, v16, v19
	s_waitcnt lgkmcnt(0)
	v_mul_f32_e32 v13, v22, v10
	v_fma_f32 v19, v21, v9, -v13
	ds_read2_b64 v[13:16], v8 offset1:108
	v_mul_f32_e32 v9, v22, v9
	v_fmac_f32_e32 v9, v21, v10
	s_waitcnt vmcnt(0)
	v_mul_f32_e32 v10, v12, v24
	v_fma_f32 v21, v11, v23, -v10
	v_mul_f32_e32 v22, v11, v24
	s_waitcnt lgkmcnt(0)
	v_add_f32_e32 v10, v14, v25
	v_add_f32_e32 v11, v13, v39
	v_fmac_f32_e32 v22, v12, v23
	v_add_f32_e32 v23, v10, v43
	v_sub_f32_e32 v24, v25, v43
	v_add_f32_e32 v10, v25, v43
	v_add_f32_e32 v25, v11, v42
	;; [unrolled: 1-line block ×3, first 2 shown]
	v_sub_f32_e32 v39, v39, v42
	v_add_f32_e32 v42, v28, v19
	v_add_f32_e32 v12, v37, v28
	v_fmac_f32_e32 v37, -0.5, v42
	v_add_f32_e32 v42, v38, v41
	v_add_f32_e32 v42, v42, v9
	v_sub_f32_e32 v43, v41, v9
	v_add_f32_e32 v9, v41, v9
	v_fmac_f32_e32 v38, -0.5, v9
	v_add_f32_e32 v41, v12, v19
	v_sub_f32_e32 v19, v28, v19
	v_mov_b32_e32 v12, v38
	v_mov_b32_e32 v9, v37
	v_fmac_f32_e32 v12, 0xbf5db3d7, v19
	v_fmac_f32_e32 v9, 0x3f5db3d7, v43
	v_mul_f32_e32 v28, 0x3f5db3d7, v12
	v_fmac_f32_e32 v28, 0.5, v9
	v_mul_f32_e32 v44, 0xbf5db3d7, v9
	v_mov_b32_e32 v9, 3
	v_fmac_f32_e32 v44, 0.5, v12
	v_mul_u32_u24_e32 v12, 0x120, v29
	v_lshlrev_b32_sdwa v29, v9, v30 dst_sel:DWORD dst_unused:UNUSED_PAD src0_sel:DWORD src1_sel:BYTE_0
	v_fma_f32 v30, -0.5, v11, v13
	v_fma_f32 v14, -0.5, v10, v14
	v_mov_b32_e32 v45, v30
	v_mov_b32_e32 v46, v14
	v_fmac_f32_e32 v45, 0x3f5db3d7, v24
	v_fmac_f32_e32 v46, 0xbf5db3d7, v39
	v_add3_u32 v29, 0, v12, v29
	v_add_f32_e32 v10, v25, v41
	v_add_f32_e32 v11, v23, v42
	;; [unrolled: 1-line block ×4, first 2 shown]
	v_fmac_f32_e32 v37, 0xbf5db3d7, v43
	v_fmac_f32_e32 v38, 0x3f5db3d7, v19
	s_barrier
	ds_write2_b64 v29, v[10:11], v[12:13] offset1:6
	v_sub_f32_e32 v11, v23, v42
	v_mul_f32_e32 v19, -0.5, v37
	v_mul_f32_e32 v23, -0.5, v38
	v_fmac_f32_e32 v30, 0xbf5db3d7, v24
	v_fmac_f32_e32 v14, 0x3f5db3d7, v39
	;; [unrolled: 1-line block ×4, first 2 shown]
	v_sub_f32_e32 v10, v25, v41
	v_add_f32_e32 v12, v30, v19
	v_add_f32_e32 v13, v14, v23
	ds_write2_b64 v29, v[12:13], v[10:11] offset0:12 offset1:18
	v_sub_f32_e32 v10, v45, v28
	v_sub_f32_e32 v11, v46, v44
	;; [unrolled: 1-line block ×4, first 2 shown]
	ds_write2_b64 v29, v[10:11], v[12:13] offset0:24 offset1:30
	v_add_f32_e32 v11, v27, v20
	v_add_f32_e32 v10, v16, v27
	v_fmac_f32_e32 v16, -0.5, v11
	v_add_f32_e32 v11, v36, v21
	v_add_f32_e32 v12, v26, v36
	v_fmac_f32_e32 v26, -0.5, v11
	;; [unrolled: 3-line block ×3, first 2 shown]
	v_sub_f32_e32 v28, v36, v21
	v_sub_f32_e32 v18, v18, v22
	v_mov_b32_e32 v29, v32
	v_fmac_f32_e32 v32, 0x3f5db3d7, v28
	v_add_f32_e32 v11, v40, v17
	v_sub_f32_e32 v23, v40, v17
	v_mov_b32_e32 v25, v26
	v_fmac_f32_e32 v26, 0xbf5db3d7, v18
	v_mul_f32_e32 v13, -0.5, v32
	v_fma_f32 v19, -0.5, v11, v15
	v_add_f32_e32 v15, v15, v40
	v_mov_b32_e32 v24, v16
	v_fmac_f32_e32 v16, 0x3f5db3d7, v23
	v_fmac_f32_e32 v13, 0xbf5db3d7, v26
	;; [unrolled: 1-line block ×4, first 2 shown]
	v_add_f32_e32 v11, v16, v13
	v_sub_f32_e32 v13, v16, v13
	v_add_f32_e32 v16, v15, v17
	v_sub_f32_e32 v15, v27, v20
	v_mov_b32_e32 v27, v19
	v_add_f32_e32 v17, v10, v20
	v_add_f32_e32 v20, v12, v21
	;; [unrolled: 1-line block ×3, first 2 shown]
	v_mul_f32_e32 v12, -0.5, v26
	v_mul_f32_e32 v21, 0x3f5db3d7, v29
	v_mul_f32_e32 v22, 0xbf5db3d7, v25
	v_fmac_f32_e32 v27, 0x3f5db3d7, v15
	v_fmac_f32_e32 v19, 0xbf5db3d7, v15
	;; [unrolled: 1-line block ×4, first 2 shown]
	v_fmac_f32_e32 v21, 0.5, v25
	v_fmac_f32_e32 v22, 0.5, v29
	v_add_f32_e32 v10, v19, v12
	v_sub_f32_e32 v12, v19, v12
	v_add_f32_e32 v14, v16, v20
	v_add_f32_e32 v15, v17, v18
	v_sub_f32_e32 v16, v16, v20
	v_sub_f32_e32 v17, v17, v18
	v_add_f32_e32 v18, v27, v21
	v_add_f32_e32 v19, v24, v22
	v_sub_f32_e32 v20, v27, v21
	v_sub_f32_e32 v21, v24, v22
	v_mul_u32_u24_e32 v22, 0x120, v34
	v_lshlrev_b32_sdwa v23, v9, v35 dst_sel:DWORD dst_unused:UNUSED_PAD src0_sel:DWORD src1_sel:BYTE_0
	v_add3_u32 v22, 0, v22, v23
	ds_write2_b64 v22, v[14:15], v[18:19] offset1:6
	ds_write2_b64 v22, v[10:11], v[16:17] offset0:12 offset1:18
	ds_write2_b64 v22, v[20:21], v[12:13] offset0:24 offset1:30
	v_mov_b32_e32 v14, 57
	v_mul_lo_u16_sdwa v10, v0, v14 dst_sel:DWORD dst_unused:UNUSED_PAD src0_sel:BYTE_0 src1_sel:DWORD
	v_lshrrev_b16_e32 v30, 11, v10
	v_mul_lo_u16_e32 v10, 36, v30
	v_sub_u16_e32 v32, v0, v10
	v_mul_u32_u24_sdwa v10, v32, v31 dst_sel:DWORD dst_unused:UNUSED_PAD src0_sel:BYTE_0 src1_sel:DWORD
	v_lshlrev_b32_e32 v34, 3, v10
	s_waitcnt lgkmcnt(0)
	s_barrier
	global_load_dwordx4 v[10:13], v34, s[8:9] offset:240
	v_mul_lo_u16_sdwa v14, v33, v14 dst_sel:DWORD dst_unused:UNUSED_PAD src0_sel:BYTE_0 src1_sel:DWORD
	v_lshrrev_b16_e32 v35, 11, v14
	v_mul_lo_u16_e32 v14, 36, v35
	v_sub_u16_e32 v33, v33, v14
	v_mul_u32_u24_sdwa v14, v33, v31 dst_sel:DWORD dst_unused:UNUSED_PAD src0_sel:BYTE_0 src1_sel:DWORD
	v_lshlrev_b32_e32 v31, 3, v14
	global_load_dwordx4 v[14:17], v31, s[8:9] offset:240
	global_load_dwordx4 v[18:21], v34, s[8:9] offset:256
	ds_read2_b64 v[22:25], v5 offset0:88 offset1:196
	ds_read2_b64 v[26:29], v1 offset0:48 offset1:156
	s_waitcnt vmcnt(2) lgkmcnt(1)
	v_mul_f32_e32 v36, v11, v23
	v_mul_f32_e32 v37, v11, v22
	v_fma_f32 v36, v10, v22, -v36
	v_fmac_f32_e32 v37, v10, v23
	s_waitcnt lgkmcnt(0)
	v_mul_f32_e32 v10, v13, v27
	v_mul_f32_e32 v39, v13, v26
	v_fma_f32 v38, v12, v26, -v10
	v_fmac_f32_e32 v39, v12, v27
	global_load_dwordx4 v[10:13], v31, s[8:9] offset:256
	s_waitcnt vmcnt(2)
	v_mul_f32_e32 v22, v25, v15
	v_mul_f32_e32 v40, v24, v15
	global_load_dwordx2 v[26:27], v34, s[8:9] offset:272
	v_fma_f32 v34, v24, v14, -v22
	v_fmac_f32_e32 v40, v25, v14
	v_mul_f32_e32 v14, v29, v17
	ds_read2_b64 v[22:25], v7 offset0:136 offset1:244
	v_fma_f32 v41, v28, v16, -v14
	v_mul_f32_e32 v28, v28, v17
	v_fmac_f32_e32 v28, v29, v16
	ds_read2_b64 v[14:17], v4 offset0:96 offset1:204
	s_waitcnt vmcnt(2) lgkmcnt(1)
	v_mul_f32_e32 v29, v19, v23
	v_fma_f32 v29, v18, v22, -v29
	v_mul_f32_e32 v22, v19, v22
	v_fmac_f32_e32 v22, v18, v23
	s_waitcnt lgkmcnt(0)
	v_mul_f32_e32 v18, v21, v15
	v_fma_f32 v23, v20, v14, -v18
	global_load_dwordx2 v[18:19], v31, s[8:9] offset:272
	v_mul_f32_e32 v21, v21, v14
	v_fmac_f32_e32 v21, v20, v15
	s_waitcnt vmcnt(2)
	v_mul_f32_e32 v14, v25, v11
	v_fma_f32 v20, v24, v10, -v14
	v_mul_f32_e32 v24, v24, v11
	v_fmac_f32_e32 v24, v25, v10
	v_mul_f32_e32 v10, v17, v13
	v_mul_f32_e32 v31, v16, v13
	v_fma_f32 v25, v16, v12, -v10
	v_fmac_f32_e32 v31, v17, v12
	ds_read2_b64 v[10:13], v6 offset0:56 offset1:164
	s_waitcnt vmcnt(1) lgkmcnt(0)
	v_mul_f32_e32 v14, v27, v11
	v_fma_f32 v42, v26, v10, -v14
	ds_read2_b64 v[14:17], v8 offset1:108
	v_mul_f32_e32 v10, v27, v10
	v_fmac_f32_e32 v10, v26, v11
	s_waitcnt vmcnt(0)
	v_mul_f32_e32 v11, v13, v19
	v_fma_f32 v26, v12, v18, -v11
	v_mul_f32_e32 v19, v12, v19
	s_waitcnt lgkmcnt(0)
	v_add_f32_e32 v11, v15, v39
	v_add_f32_e32 v12, v14, v38
	v_fmac_f32_e32 v19, v13, v18
	v_add_f32_e32 v18, v11, v21
	v_sub_f32_e32 v27, v39, v21
	v_add_f32_e32 v11, v39, v21
	v_add_f32_e32 v21, v12, v23
	;; [unrolled: 1-line block ×3, first 2 shown]
	v_sub_f32_e32 v23, v38, v23
	v_add_f32_e32 v38, v29, v42
	v_add_f32_e32 v13, v36, v29
	v_fmac_f32_e32 v36, -0.5, v38
	v_add_f32_e32 v38, v37, v22
	v_add_f32_e32 v38, v38, v10
	v_sub_f32_e32 v39, v22, v10
	v_add_f32_e32 v10, v22, v10
	v_fmac_f32_e32 v37, -0.5, v10
	v_mov_b32_e32 v10, v36
	v_add_f32_e32 v22, v13, v42
	v_sub_f32_e32 v29, v29, v42
	v_fmac_f32_e32 v10, 0x3f5db3d7, v39
	v_mov_b32_e32 v13, v37
	v_fmac_f32_e32 v13, 0xbf5db3d7, v29
	v_mul_f32_e32 v43, 0xbf5db3d7, v10
	v_mul_f32_e32 v42, 0x3f5db3d7, v13
	v_fmac_f32_e32 v43, 0.5, v13
	v_lshlrev_b32_sdwa v13, v9, v32 dst_sel:DWORD dst_unused:UNUSED_PAD src0_sel:DWORD src1_sel:BYTE_0
	v_fma_f32 v32, -0.5, v12, v14
	v_fma_f32 v44, -0.5, v11, v15
	v_mov_b32_e32 v14, v32
	v_mov_b32_e32 v15, v44
	v_fmac_f32_e32 v42, 0.5, v10
	v_mul_u32_u24_e32 v10, 0x6c0, v30
	v_fmac_f32_e32 v14, 0x3f5db3d7, v27
	v_fmac_f32_e32 v15, 0xbf5db3d7, v23
	v_add3_u32 v30, 0, v10, v13
	v_add_f32_e32 v10, v21, v22
	v_add_f32_e32 v11, v18, v38
	v_add_f32_e32 v12, v14, v42
	v_add_f32_e32 v13, v15, v43
	v_fmac_f32_e32 v36, 0xbf5db3d7, v39
	v_fmac_f32_e32 v37, 0x3f5db3d7, v29
	s_barrier
	ds_write2_b64 v30, v[10:11], v[12:13] offset1:36
	v_sub_f32_e32 v10, v21, v22
	v_sub_f32_e32 v11, v18, v38
	v_mul_f32_e32 v18, -0.5, v36
	v_mul_f32_e32 v21, -0.5, v37
	v_fmac_f32_e32 v32, 0xbf5db3d7, v27
	v_fmac_f32_e32 v44, 0x3f5db3d7, v23
	;; [unrolled: 1-line block ×4, first 2 shown]
	v_add_f32_e32 v12, v32, v18
	v_add_f32_e32 v13, v44, v21
	ds_write2_b64 v30, v[12:13], v[10:11] offset0:72 offset1:108
	v_add_f32_e32 v10, v28, v31
	v_add_f32_e32 v22, v17, v28
	v_fmac_f32_e32 v17, -0.5, v10
	v_add_f32_e32 v10, v20, v26
	v_add_f32_e32 v23, v34, v20
	v_fmac_f32_e32 v34, -0.5, v10
	;; [unrolled: 3-line block ×3, first 2 shown]
	v_sub_f32_e32 v39, v20, v26
	v_add_f32_e32 v10, v41, v25
	v_add_f32_e32 v29, v16, v41
	v_sub_f32_e32 v36, v41, v25
	v_sub_f32_e32 v24, v24, v19
	v_mov_b32_e32 v41, v40
	v_fmac_f32_e32 v40, 0x3f5db3d7, v39
	v_fma_f32 v12, -0.5, v10, v16
	v_mov_b32_e32 v38, v34
	v_fmac_f32_e32 v34, 0xbf5db3d7, v24
	v_mul_f32_e32 v10, -0.5, v40
	v_mov_b32_e32 v37, v17
	v_fmac_f32_e32 v17, 0x3f5db3d7, v36
	v_fmac_f32_e32 v10, 0xbf5db3d7, v34
	;; [unrolled: 1-line block ×4, first 2 shown]
	v_add_f32_e32 v11, v17, v10
	v_sub_f32_e32 v13, v17, v10
	v_sub_f32_e32 v14, v14, v42
	;; [unrolled: 1-line block ×5, first 2 shown]
	v_mul_f32_e32 v18, -0.5, v34
	v_sub_f32_e32 v28, v28, v31
	v_mov_b32_e32 v32, v12
	v_add_f32_e32 v20, v29, v25
	v_mul_f32_e32 v24, 0x3f5db3d7, v41
	v_mul_f32_e32 v25, 0xbf5db3d7, v38
	v_fmac_f32_e32 v18, 0x3f5db3d7, v40
	v_fmac_f32_e32 v12, 0xbf5db3d7, v28
	v_add_f32_e32 v21, v22, v31
	v_add_f32_e32 v22, v23, v26
	;; [unrolled: 1-line block ×3, first 2 shown]
	v_fmac_f32_e32 v32, 0x3f5db3d7, v28
	v_fmac_f32_e32 v37, 0xbf5db3d7, v36
	v_fmac_f32_e32 v24, 0.5, v38
	v_fmac_f32_e32 v25, 0.5, v41
	ds_write2_b64 v30, v[14:15], v[16:17] offset0:144 offset1:180
	v_mul_u32_u24_e32 v14, 0x6c0, v35
	v_lshlrev_b32_sdwa v9, v9, v33 dst_sel:DWORD dst_unused:UNUSED_PAD src0_sel:DWORD src1_sel:BYTE_0
	v_add_f32_e32 v10, v12, v18
	v_sub_f32_e32 v12, v12, v18
	v_add_f32_e32 v18, v20, v22
	v_add_f32_e32 v19, v21, v23
	v_sub_f32_e32 v20, v20, v22
	v_sub_f32_e32 v21, v21, v23
	v_add_f32_e32 v22, v32, v24
	v_add_f32_e32 v23, v37, v25
	v_add3_u32 v9, 0, v14, v9
	v_sub_f32_e32 v24, v32, v24
	v_sub_f32_e32 v25, v37, v25
	ds_write2_b64 v9, v[18:19], v[22:23] offset1:36
	ds_write2_b64 v9, v[10:11], v[20:21] offset0:72 offset1:108
	ds_write2_b64 v9, v[24:25], v[12:13] offset0:144 offset1:180
	v_mul_u32_u24_e32 v9, 5, v0
	v_lshlrev_b32_e32 v27, 3, v9
	s_waitcnt lgkmcnt(0)
	s_barrier
	global_load_dwordx4 v[9:12], v27, s[8:9] offset:1680
	v_mov_b32_e32 v13, s9
	v_add_co_u32_e32 v23, vcc, s8, v27
	v_addc_co_u32_e32 v24, vcc, 0, v13, vcc
	v_add_co_u32_e32 v21, vcc, s4, v23
	v_addc_co_u32_e32 v22, vcc, 0, v24, vcc
	global_load_dwordx4 v[13:16], v[21:22], off offset:1904
	global_load_dwordx4 v[17:20], v27, s[8:9] offset:1696
	s_movk_i32 s4, 0x1770
	v_add_co_u32_e32 v25, vcc, s4, v23
	v_addc_co_u32_e32 v26, vcc, 0, v24, vcc
	global_load_dwordx4 v[21:24], v[25:26], off offset:16
	global_load_dwordx2 v[33:34], v27, s[8:9] offset:1712
	global_load_dwordx2 v[35:36], v[25:26], off offset:32
	ds_read2_b64 v[25:28], v5 offset0:88 offset1:196
	ds_read2_b64 v[29:32], v1 offset0:48 offset1:156
	s_waitcnt vmcnt(5) lgkmcnt(1)
	v_mul_f32_e32 v37, v10, v26
	v_fma_f32 v37, v9, v25, -v37
	v_mul_f32_e32 v25, v10, v25
	v_fmac_f32_e32 v25, v9, v26
	s_waitcnt lgkmcnt(0)
	v_mul_f32_e32 v9, v12, v30
	v_fma_f32 v26, v11, v29, -v9
	v_mul_f32_e32 v29, v12, v29
	v_fmac_f32_e32 v29, v11, v30
	s_waitcnt vmcnt(4)
	v_mul_f32_e32 v9, v28, v14
	v_fma_f32 v30, v27, v13, -v9
	v_mul_f32_e32 v27, v27, v14
	v_fmac_f32_e32 v27, v28, v13
	v_mul_f32_e32 v13, v32, v16
	ds_read2_b64 v[9:12], v7 offset0:136 offset1:244
	v_fma_f32 v28, v31, v15, -v13
	v_mul_f32_e32 v31, v31, v16
	v_fmac_f32_e32 v31, v32, v15
	ds_read2_b64 v[13:16], v4 offset0:96 offset1:204
	s_waitcnt vmcnt(3) lgkmcnt(1)
	v_mul_f32_e32 v32, v18, v10
	v_fma_f32 v32, v17, v9, -v32
	v_mul_f32_e32 v18, v18, v9
	v_fmac_f32_e32 v18, v17, v10
	s_waitcnt lgkmcnt(0)
	v_mul_f32_e32 v9, v20, v14
	v_fma_f32 v17, v19, v13, -v9
	v_mul_f32_e32 v20, v20, v13
	s_waitcnt vmcnt(2)
	v_mul_f32_e32 v9, v12, v22
	v_mul_f32_e32 v22, v11, v22
	v_fmac_f32_e32 v20, v19, v14
	v_fma_f32 v19, v11, v21, -v9
	v_fmac_f32_e32 v22, v12, v21
	ds_read2_b64 v[9:12], v6 offset0:56 offset1:164
	v_mul_f32_e32 v13, v16, v24
	v_fma_f32 v21, v15, v23, -v13
	v_mul_f32_e32 v24, v15, v24
	v_fmac_f32_e32 v24, v16, v23
	s_waitcnt vmcnt(1) lgkmcnt(0)
	v_mul_f32_e32 v13, v34, v10
	v_fma_f32 v23, v33, v9, -v13
	ds_read2_b64 v[13:16], v8 offset1:108
	v_mul_f32_e32 v34, v34, v9
	s_waitcnt vmcnt(0)
	v_mul_f32_e32 v9, v12, v36
	v_fmac_f32_e32 v34, v33, v10
	v_fma_f32 v33, v11, v35, -v9
	v_mul_f32_e32 v36, v11, v36
	s_waitcnt lgkmcnt(0)
	v_add_f32_e32 v9, v13, v26
	v_add_f32_e32 v11, v15, v28
	v_fmac_f32_e32 v36, v12, v35
	v_add_f32_e32 v35, v9, v17
	v_add_f32_e32 v9, v14, v29
	;; [unrolled: 1-line block ×18, first 2 shown]
	s_barrier
	ds_write2_b64 v8, v[9:10], v[11:12] offset1:108
	v_add_f32_e32 v9, v19, v33
	v_fmac_f32_e32 v30, -0.5, v9
	v_add_f32_e32 v9, v22, v36
	v_add_f32_e32 v8, v31, v24
	v_fmac_f32_e32 v27, -0.5, v9
	v_sub_f32_e32 v33, v19, v33
	v_fmac_f32_e32 v16, -0.5, v8
	v_add_f32_e32 v8, v28, v21
	v_sub_f32_e32 v45, v22, v36
	v_add_f32_e32 v9, v26, v17
	v_mov_b32_e32 v47, v27
	v_fmac_f32_e32 v27, 0x3f5db3d7, v33
	v_sub_f32_e32 v28, v28, v21
	v_fma_f32 v10, -0.5, v9, v13
	v_add_f32_e32 v9, v29, v20
	v_fma_f32 v22, -0.5, v8, v15
	v_mov_b32_e32 v46, v30
	v_fmac_f32_e32 v30, 0xbf5db3d7, v45
	v_mul_f32_e32 v8, -0.5, v27
	v_fma_f32 v21, -0.5, v9, v14
	v_mov_b32_e32 v36, v16
	v_fmac_f32_e32 v16, 0x3f5db3d7, v28
	v_fmac_f32_e32 v8, 0xbf5db3d7, v30
	v_add_f32_e32 v14, v32, v23
	v_add_f32_e32 v9, v16, v8
	v_sub_f32_e32 v11, v16, v8
	v_sub_f32_e32 v8, v29, v20
	v_fmac_f32_e32 v37, -0.5, v14
	v_sub_f32_e32 v20, v18, v34
	v_add_f32_e32 v14, v18, v34
	v_fmac_f32_e32 v25, -0.5, v14
	v_sub_f32_e32 v18, v32, v23
	v_mov_b32_e32 v14, v37
	v_mov_b32_e32 v23, v10
	v_fmac_f32_e32 v37, 0xbf5db3d7, v20
	v_fmac_f32_e32 v14, 0x3f5db3d7, v20
	v_mov_b32_e32 v15, v25
	v_fmac_f32_e32 v23, 0x3f5db3d7, v8
	v_fmac_f32_e32 v10, 0xbf5db3d7, v8
	;; [unrolled: 1-line block ×3, first 2 shown]
	v_mul_f32_e32 v8, -0.5, v37
	v_sub_f32_e32 v19, v26, v17
	v_fmac_f32_e32 v15, 0xbf5db3d7, v18
	v_mul_f32_e32 v17, 0xbf5db3d7, v14
	v_mov_b32_e32 v26, v21
	v_fmac_f32_e32 v8, 0x3f5db3d7, v25
	v_mul_f32_e32 v16, 0x3f5db3d7, v15
	v_fmac_f32_e32 v17, 0.5, v15
	v_fmac_f32_e32 v26, 0xbf5db3d7, v19
	v_add_f32_e32 v18, v10, v8
	v_sub_f32_e32 v20, v10, v8
	v_mul_f32_e32 v10, -0.5, v30
	v_fmac_f32_e32 v46, 0x3f5db3d7, v45
	v_fmac_f32_e32 v47, 0xbf5db3d7, v33
	v_fmac_f32_e32 v16, 0.5, v14
	v_add_f32_e32 v15, v26, v17
	v_sub_f32_e32 v17, v26, v17
	v_sub_f32_e32 v24, v31, v24
	v_fmac_f32_e32 v10, 0x3f5db3d7, v27
	v_mov_b32_e32 v26, v22
	v_fmac_f32_e32 v36, 0xbf5db3d7, v28
	v_mul_f32_e32 v27, 0x3f5db3d7, v47
	v_mul_f32_e32 v28, 0xbf5db3d7, v46
	v_add_f32_e32 v14, v23, v16
	v_sub_f32_e32 v16, v23, v16
	v_mul_f32_e32 v23, -0.5, v25
	v_fmac_f32_e32 v26, 0x3f5db3d7, v24
	v_fmac_f32_e32 v27, 0.5, v46
	v_fmac_f32_e32 v28, 0.5, v47
	v_fmac_f32_e32 v21, 0x3f5db3d7, v19
	v_fmac_f32_e32 v23, 0xbf5db3d7, v37
	;; [unrolled: 1-line block ×3, first 2 shown]
	v_add_f32_e32 v24, v26, v27
	v_add_f32_e32 v25, v36, v28
	v_sub_f32_e32 v12, v35, v39
	v_sub_f32_e32 v13, v38, v40
	v_add_f32_e32 v19, v21, v23
	v_sub_f32_e32 v21, v21, v23
	v_add_f32_e32 v8, v22, v10
	v_sub_f32_e32 v10, v22, v10
	v_sub_f32_e32 v22, v41, v43
	v_sub_f32_e32 v23, v42, v44
	v_sub_f32_e32 v26, v26, v27
	v_sub_f32_e32 v27, v36, v28
	ds_write2_b64 v5, v[14:15], v[24:25] offset0:88 offset1:196
	ds_write2_b64 v1, v[18:19], v[8:9] offset0:48 offset1:156
	ds_write2_b64 v7, v[12:13], v[22:23] offset0:136 offset1:244
	ds_write2_b64 v4, v[16:17], v[26:27] offset0:96 offset1:204
	ds_write2_b64 v6, v[20:21], v[10:11] offset0:56 offset1:164
	s_waitcnt lgkmcnt(0)
	s_barrier
	s_and_saveexec_b64 s[4:5], s[0:1]
	s_cbranch_execz .LBB0_19
; %bb.18:
	v_lshl_add_u32 v8, v0, 3, 0
	v_mov_b32_e32 v1, 0
	ds_read2_b64 v[4:7], v8 offset1:108
	v_mov_b32_e32 v9, s3
	v_add_co_u32_e32 v10, vcc, s2, v2
	v_addc_co_u32_e32 v9, vcc, v9, v3, vcc
	v_lshlrev_b64 v[2:3], 3, v[0:1]
	v_add_co_u32_e32 v2, vcc, v10, v2
	v_addc_co_u32_e32 v3, vcc, v9, v3, vcc
	s_waitcnt lgkmcnt(0)
	global_store_dwordx2 v[2:3], v[4:5], off
	v_add_u32_e32 v2, 0x6c, v0
	v_mov_b32_e32 v3, v1
	v_lshlrev_b64 v[2:3], 3, v[2:3]
	v_add_co_u32_e32 v2, vcc, v10, v2
	v_addc_co_u32_e32 v3, vcc, v9, v3, vcc
	global_store_dwordx2 v[2:3], v[6:7], off
	v_add_u32_e32 v2, 0x400, v8
	v_add_u32_e32 v6, 0xd8, v0
	v_mov_b32_e32 v7, v1
	ds_read2_b64 v[2:5], v2 offset0:88 offset1:196
	v_lshlrev_b64 v[6:7], 3, v[6:7]
	v_add_co_u32_e32 v6, vcc, v10, v6
	v_addc_co_u32_e32 v7, vcc, v9, v7, vcc
	s_waitcnt lgkmcnt(0)
	global_store_dwordx2 v[6:7], v[2:3], off
	v_add_u32_e32 v2, 0x144, v0
	v_mov_b32_e32 v3, v1
	v_lshlrev_b64 v[2:3], 3, v[2:3]
	v_add_u32_e32 v6, 0x1b0, v0
	v_add_co_u32_e32 v2, vcc, v10, v2
	v_addc_co_u32_e32 v3, vcc, v9, v3, vcc
	global_store_dwordx2 v[2:3], v[4:5], off
	v_add_u32_e32 v2, 0xc00, v8
	v_mov_b32_e32 v7, v1
	ds_read2_b64 v[2:5], v2 offset0:48 offset1:156
	v_lshlrev_b64 v[6:7], 3, v[6:7]
	v_add_co_u32_e32 v6, vcc, v10, v6
	v_addc_co_u32_e32 v7, vcc, v9, v7, vcc
	s_waitcnt lgkmcnt(0)
	global_store_dwordx2 v[6:7], v[2:3], off
	v_add_u32_e32 v2, 0x21c, v0
	v_mov_b32_e32 v3, v1
	v_lshlrev_b64 v[2:3], 3, v[2:3]
	v_add_u32_e32 v6, 0x288, v0
	v_add_co_u32_e32 v2, vcc, v10, v2
	v_addc_co_u32_e32 v3, vcc, v9, v3, vcc
	global_store_dwordx2 v[2:3], v[4:5], off
	;; [unrolled: 15-line block ×3, first 2 shown]
	v_add_u32_e32 v2, 0x1800, v8
	v_mov_b32_e32 v7, v1
	ds_read2_b64 v[2:5], v2 offset0:96 offset1:204
	v_lshlrev_b64 v[6:7], 3, v[6:7]
	v_add_co_u32_e32 v6, vcc, v10, v6
	v_addc_co_u32_e32 v7, vcc, v9, v7, vcc
	s_waitcnt lgkmcnt(0)
	global_store_dwordx2 v[6:7], v[2:3], off
	v_add_u32_e32 v2, 0x3cc, v0
	v_mov_b32_e32 v3, v1
	v_lshlrev_b64 v[2:3], 3, v[2:3]
	v_add_u32_e32 v6, 0x438, v0
	v_add_co_u32_e32 v2, vcc, v10, v2
	v_addc_co_u32_e32 v3, vcc, v9, v3, vcc
	v_mov_b32_e32 v7, v1
	global_store_dwordx2 v[2:3], v[4:5], off
	v_add_u32_e32 v2, 0x2000, v8
	v_lshlrev_b64 v[6:7], 3, v[6:7]
	ds_read2_b64 v[2:5], v2 offset0:56 offset1:164
	v_add_u32_e32 v0, 0x4a4, v0
	v_add_co_u32_e32 v6, vcc, v10, v6
	v_lshlrev_b64 v[0:1], 3, v[0:1]
	v_addc_co_u32_e32 v7, vcc, v9, v7, vcc
	v_add_co_u32_e32 v0, vcc, v10, v0
	v_addc_co_u32_e32 v1, vcc, v9, v1, vcc
	s_waitcnt lgkmcnt(0)
	global_store_dwordx2 v[6:7], v[2:3], off
	global_store_dwordx2 v[0:1], v[4:5], off
.LBB0_19:
	s_endpgm
	.section	.rodata,"a",@progbits
	.p2align	6, 0x0
	.amdhsa_kernel fft_rtc_fwd_len1296_factors_6_6_6_6_wgs_108_tpt_108_halfLds_sp_ip_CI_unitstride_sbrr_C2R_dirReg
		.amdhsa_group_segment_fixed_size 0
		.amdhsa_private_segment_fixed_size 0
		.amdhsa_kernarg_size 88
		.amdhsa_user_sgpr_count 6
		.amdhsa_user_sgpr_private_segment_buffer 1
		.amdhsa_user_sgpr_dispatch_ptr 0
		.amdhsa_user_sgpr_queue_ptr 0
		.amdhsa_user_sgpr_kernarg_segment_ptr 1
		.amdhsa_user_sgpr_dispatch_id 0
		.amdhsa_user_sgpr_flat_scratch_init 0
		.amdhsa_user_sgpr_private_segment_size 0
		.amdhsa_uses_dynamic_stack 0
		.amdhsa_system_sgpr_private_segment_wavefront_offset 0
		.amdhsa_system_sgpr_workgroup_id_x 1
		.amdhsa_system_sgpr_workgroup_id_y 0
		.amdhsa_system_sgpr_workgroup_id_z 0
		.amdhsa_system_sgpr_workgroup_info 0
		.amdhsa_system_vgpr_workitem_id 0
		.amdhsa_next_free_vgpr 48
		.amdhsa_next_free_sgpr 22
		.amdhsa_reserve_vcc 1
		.amdhsa_reserve_flat_scratch 0
		.amdhsa_float_round_mode_32 0
		.amdhsa_float_round_mode_16_64 0
		.amdhsa_float_denorm_mode_32 3
		.amdhsa_float_denorm_mode_16_64 3
		.amdhsa_dx10_clamp 1
		.amdhsa_ieee_mode 1
		.amdhsa_fp16_overflow 0
		.amdhsa_exception_fp_ieee_invalid_op 0
		.amdhsa_exception_fp_denorm_src 0
		.amdhsa_exception_fp_ieee_div_zero 0
		.amdhsa_exception_fp_ieee_overflow 0
		.amdhsa_exception_fp_ieee_underflow 0
		.amdhsa_exception_fp_ieee_inexact 0
		.amdhsa_exception_int_div_zero 0
	.end_amdhsa_kernel
	.text
.Lfunc_end0:
	.size	fft_rtc_fwd_len1296_factors_6_6_6_6_wgs_108_tpt_108_halfLds_sp_ip_CI_unitstride_sbrr_C2R_dirReg, .Lfunc_end0-fft_rtc_fwd_len1296_factors_6_6_6_6_wgs_108_tpt_108_halfLds_sp_ip_CI_unitstride_sbrr_C2R_dirReg
                                        ; -- End function
	.section	.AMDGPU.csdata,"",@progbits
; Kernel info:
; codeLenInByte = 6692
; NumSgprs: 26
; NumVgprs: 48
; ScratchSize: 0
; MemoryBound: 0
; FloatMode: 240
; IeeeMode: 1
; LDSByteSize: 0 bytes/workgroup (compile time only)
; SGPRBlocks: 3
; VGPRBlocks: 11
; NumSGPRsForWavesPerEU: 26
; NumVGPRsForWavesPerEU: 48
; Occupancy: 5
; WaveLimiterHint : 1
; COMPUTE_PGM_RSRC2:SCRATCH_EN: 0
; COMPUTE_PGM_RSRC2:USER_SGPR: 6
; COMPUTE_PGM_RSRC2:TRAP_HANDLER: 0
; COMPUTE_PGM_RSRC2:TGID_X_EN: 1
; COMPUTE_PGM_RSRC2:TGID_Y_EN: 0
; COMPUTE_PGM_RSRC2:TGID_Z_EN: 0
; COMPUTE_PGM_RSRC2:TIDIG_COMP_CNT: 0
	.type	__hip_cuid_6659b58769963a00,@object ; @__hip_cuid_6659b58769963a00
	.section	.bss,"aw",@nobits
	.globl	__hip_cuid_6659b58769963a00
__hip_cuid_6659b58769963a00:
	.byte	0                               ; 0x0
	.size	__hip_cuid_6659b58769963a00, 1

	.ident	"AMD clang version 19.0.0git (https://github.com/RadeonOpenCompute/llvm-project roc-6.4.0 25133 c7fe45cf4b819c5991fe208aaa96edf142730f1d)"
	.section	".note.GNU-stack","",@progbits
	.addrsig
	.addrsig_sym __hip_cuid_6659b58769963a00
	.amdgpu_metadata
---
amdhsa.kernels:
  - .args:
      - .actual_access:  read_only
        .address_space:  global
        .offset:         0
        .size:           8
        .value_kind:     global_buffer
      - .offset:         8
        .size:           8
        .value_kind:     by_value
      - .actual_access:  read_only
        .address_space:  global
        .offset:         16
        .size:           8
        .value_kind:     global_buffer
      - .actual_access:  read_only
        .address_space:  global
        .offset:         24
        .size:           8
        .value_kind:     global_buffer
      - .offset:         32
        .size:           8
        .value_kind:     by_value
      - .actual_access:  read_only
        .address_space:  global
        .offset:         40
        .size:           8
        .value_kind:     global_buffer
      - .actual_access:  read_only
        .address_space:  global
        .offset:         48
        .size:           8
        .value_kind:     global_buffer
      - .offset:         56
        .size:           4
        .value_kind:     by_value
      - .actual_access:  read_only
        .address_space:  global
        .offset:         64
        .size:           8
        .value_kind:     global_buffer
      - .actual_access:  read_only
        .address_space:  global
        .offset:         72
        .size:           8
        .value_kind:     global_buffer
      - .address_space:  global
        .offset:         80
        .size:           8
        .value_kind:     global_buffer
    .group_segment_fixed_size: 0
    .kernarg_segment_align: 8
    .kernarg_segment_size: 88
    .language:       OpenCL C
    .language_version:
      - 2
      - 0
    .max_flat_workgroup_size: 108
    .name:           fft_rtc_fwd_len1296_factors_6_6_6_6_wgs_108_tpt_108_halfLds_sp_ip_CI_unitstride_sbrr_C2R_dirReg
    .private_segment_fixed_size: 0
    .sgpr_count:     26
    .sgpr_spill_count: 0
    .symbol:         fft_rtc_fwd_len1296_factors_6_6_6_6_wgs_108_tpt_108_halfLds_sp_ip_CI_unitstride_sbrr_C2R_dirReg.kd
    .uniform_work_group_size: 1
    .uses_dynamic_stack: false
    .vgpr_count:     48
    .vgpr_spill_count: 0
    .wavefront_size: 64
amdhsa.target:   amdgcn-amd-amdhsa--gfx906
amdhsa.version:
  - 1
  - 2
...

	.end_amdgpu_metadata
